;; amdgpu-corpus repo=ROCm/rocFFT kind=compiled arch=gfx1201 opt=O3
	.text
	.amdgcn_target "amdgcn-amd-amdhsa--gfx1201"
	.amdhsa_code_object_version 6
	.protected	fft_rtc_back_len280_factors_8_5_7_wgs_392_tpt_56_dp_op_CI_CI_sbcc_twdbase8_2step_dirReg_intrinsicReadWrite ; -- Begin function fft_rtc_back_len280_factors_8_5_7_wgs_392_tpt_56_dp_op_CI_CI_sbcc_twdbase8_2step_dirReg_intrinsicReadWrite
	.globl	fft_rtc_back_len280_factors_8_5_7_wgs_392_tpt_56_dp_op_CI_CI_sbcc_twdbase8_2step_dirReg_intrinsicReadWrite
	.p2align	8
	.type	fft_rtc_back_len280_factors_8_5_7_wgs_392_tpt_56_dp_op_CI_CI_sbcc_twdbase8_2step_dirReg_intrinsicReadWrite,@function
fft_rtc_back_len280_factors_8_5_7_wgs_392_tpt_56_dp_op_CI_CI_sbcc_twdbase8_2step_dirReg_intrinsicReadWrite: ; @fft_rtc_back_len280_factors_8_5_7_wgs_392_tpt_56_dp_op_CI_CI_sbcc_twdbase8_2step_dirReg_intrinsicReadWrite
; %bb.0:
	s_clause 0x1
	s_load_b128 s[20:23], s[0:1], 0x18
	s_load_b64 s[28:29], s[0:1], 0x28
	s_mov_b32 s35, 0
	s_mov_b32 s2, 0x92481000
	s_movk_i32 s3, 0x64
	s_mov_b32 s34, s35
	s_mov_b64 s[24:25], 0
	s_add_nc_u64 s[2:3], s[34:35], s[2:3]
	s_delay_alu instid0(SALU_CYCLE_1) | instskip(NEXT) | instid1(SALU_CYCLE_1)
	s_add_co_i32 s3, s3, 0x249248c0
	s_mul_u64 s[4:5], s[2:3], -7
	s_delay_alu instid0(SALU_CYCLE_1)
	s_mul_hi_u32 s7, s2, s5
	s_mul_i32 s6, s2, s5
	s_mul_hi_u32 s34, s2, s4
	s_mul_i32 s9, s3, s4
	s_add_nc_u64 s[6:7], s[34:35], s[6:7]
	s_mul_hi_u32 s8, s3, s4
	s_mul_hi_u32 s10, s3, s5
	s_wait_kmcnt 0x0
	s_load_b64 s[30:31], s[20:21], 0x8
	s_mul_i32 s4, s3, s5
	s_add_co_u32 s5, s6, s9
	s_add_co_ci_u32 s34, s7, s8
	s_add_co_ci_u32 s5, s10, 0
	s_delay_alu instid0(SALU_CYCLE_1) | instskip(NEXT) | instid1(SALU_CYCLE_1)
	s_add_nc_u64 s[4:5], s[34:35], s[4:5]
	v_add_co_u32 v1, s2, s2, s4
	s_delay_alu instid0(VALU_DEP_1) | instskip(SKIP_1) | instid1(VALU_DEP_1)
	s_cmp_lg_u32 s2, 0
	s_add_co_ci_u32 s6, s3, s5
	v_readfirstlane_b32 s7, v1
	s_wait_kmcnt 0x0
	s_add_nc_u64 s[2:3], s[30:31], -1
	s_wait_alu 0xfffe
	s_mul_hi_u32 s5, s2, s6
	s_mul_i32 s4, s2, s6
	s_mul_hi_u32 s34, s2, s7
	s_mul_hi_u32 s9, s3, s7
	s_mul_i32 s7, s3, s7
	s_wait_alu 0xfffe
	s_add_nc_u64 s[4:5], s[34:35], s[4:5]
	s_mul_hi_u32 s8, s3, s6
	s_wait_alu 0xfffe
	s_add_co_u32 s4, s4, s7
	s_add_co_ci_u32 s34, s5, s9
	s_mul_i32 s6, s3, s6
	s_add_co_ci_u32 s7, s8, 0
	s_delay_alu instid0(SALU_CYCLE_1) | instskip(SKIP_3) | instid1(SALU_CYCLE_1)
	s_add_nc_u64 s[4:5], s[34:35], s[6:7]
	s_mov_b32 s34, ttmp9
	s_wait_alu 0xfffe
	s_mul_u64 s[6:7], s[4:5], 7
	v_sub_co_u32 v1, s2, s2, s6
	s_delay_alu instid0(VALU_DEP_1) | instskip(SKIP_1) | instid1(VALU_DEP_1)
	s_cmp_lg_u32 s2, 0
	s_sub_co_ci_u32 s8, s3, s7
	v_sub_co_u32 v2, s6, v1, 7
	s_delay_alu instid0(VALU_DEP_1) | instskip(SKIP_2) | instid1(VALU_DEP_2)
	s_cmp_lg_u32 s6, 0
	v_readfirstlane_b32 s10, v1
	s_sub_co_ci_u32 s6, s8, 0
	v_readfirstlane_b32 s2, v2
	s_delay_alu instid0(VALU_DEP_1)
	s_cmp_gt_u32 s2, 6
	s_add_nc_u64 s[2:3], s[4:5], 1
	s_cselect_b32 s9, -1, 0
	s_wait_alu 0xfffe
	s_cmp_eq_u32 s6, 0
	s_add_nc_u64 s[6:7], s[4:5], 2
	s_cselect_b32 s9, s9, -1
	s_delay_alu instid0(SALU_CYCLE_1)
	s_cmp_lg_u32 s9, 0
	s_wait_alu 0xfffe
	s_cselect_b32 s2, s6, s2
	s_cselect_b32 s3, s7, s3
	s_cmp_gt_u32 s10, 6
	s_cselect_b32 s6, -1, 0
	s_cmp_eq_u32 s8, 0
	s_wait_alu 0xfffe
	s_cselect_b32 s6, s6, -1
	s_wait_alu 0xfffe
	s_cmp_lg_u32 s6, 0
	s_cselect_b32 s3, s3, s5
	s_cselect_b32 s2, s2, s4
	s_wait_alu 0xfffe
	s_add_nc_u64 s[38:39], s[2:3], 1
	s_delay_alu instid0(SALU_CYCLE_1) | instskip(NEXT) | instid1(VALU_DEP_1)
	v_cmp_lt_u64_e64 s2, s[34:35], s[38:39]
	s_and_b32 vcc_lo, exec_lo, s2
	s_cbranch_vccnz .LBB0_2
; %bb.1:
	v_cvt_f32_u32_e32 v1, s38
	s_sub_co_i32 s3, 0, s38
	s_mov_b32 s25, s35
	s_delay_alu instid0(VALU_DEP_1) | instskip(NEXT) | instid1(TRANS32_DEP_1)
	v_rcp_iflag_f32_e32 v1, v1
	v_mul_f32_e32 v1, 0x4f7ffffe, v1
	s_delay_alu instid0(VALU_DEP_1) | instskip(NEXT) | instid1(VALU_DEP_1)
	v_cvt_u32_f32_e32 v1, v1
	v_readfirstlane_b32 s2, v1
	s_wait_alu 0xfffe
	s_delay_alu instid0(VALU_DEP_1)
	s_mul_i32 s3, s3, s2
	s_wait_alu 0xfffe
	s_mul_hi_u32 s3, s2, s3
	s_wait_alu 0xfffe
	s_add_co_i32 s2, s2, s3
	s_wait_alu 0xfffe
	s_mul_hi_u32 s2, s34, s2
	s_wait_alu 0xfffe
	s_mul_i32 s3, s2, s38
	s_add_co_i32 s4, s2, 1
	s_wait_alu 0xfffe
	s_sub_co_i32 s3, s34, s3
	s_wait_alu 0xfffe
	s_sub_co_i32 s5, s3, s38
	s_cmp_ge_u32 s3, s38
	s_cselect_b32 s2, s4, s2
	s_wait_alu 0xfffe
	s_cselect_b32 s3, s5, s3
	s_add_co_i32 s4, s2, 1
	s_wait_alu 0xfffe
	s_cmp_ge_u32 s3, s38
	s_cselect_b32 s24, s4, s2
.LBB0_2:
	s_load_b128 s[12:15], s[0:1], 0x8
	s_load_b128 s[16:19], s[22:23], 0x0
	;; [unrolled: 1-line block ×3, first 2 shown]
	s_clause 0x1
	s_load_b64 s[26:27], s[0:1], 0x0
	s_load_b128 s[4:7], s[0:1], 0x60
	s_mul_u64 s[0:1], s[24:25], s[38:39]
	s_delay_alu instid0(SALU_CYCLE_1) | instskip(NEXT) | instid1(SALU_CYCLE_1)
	s_sub_nc_u64 s[0:1], s[34:35], s[0:1]
	s_mul_u64 s[40:41], s[0:1], 7
	s_wait_kmcnt 0x0
	v_cmp_lt_u64_e64 s2, s[14:15], 3
	s_mul_u64 s[36:37], s[18:19], s[40:41]
	s_delay_alu instid0(VALU_DEP_1)
	s_and_b32 vcc_lo, exec_lo, s2
	s_mul_u64 s[2:3], s[10:11], s[40:41]
	s_cbranch_vccnz .LBB0_12
; %bb.3:
	s_add_nc_u64 s[0:1], s[28:29], 16
	s_add_nc_u64 s[42:43], s[22:23], 16
	;; [unrolled: 1-line block ×3, first 2 shown]
	s_mov_b64 s[44:45], 2
	s_mov_b32 s46, 0
.LBB0_4:                                ; =>This Inner Loop Header: Depth=1
	s_load_b64 s[48:49], s[20:21], 0x0
                                        ; implicit-def: $sgpr52_sgpr53
	s_wait_kmcnt 0x0
	s_or_b64 s[50:51], s[24:25], s[48:49]
	s_delay_alu instid0(SALU_CYCLE_1)
	s_mov_b32 s47, s51
	s_mov_b32 s51, -1
	s_cmp_lg_u64 s[46:47], 0
	s_cbranch_scc0 .LBB0_6
; %bb.5:                                ;   in Loop: Header=BB0_4 Depth=1
	s_cvt_f32_u32 s9, s48
	s_cvt_f32_u32 s11, s49
	s_sub_nc_u64 s[54:55], 0, s[48:49]
	s_mov_b32 s51, 0
	s_mov_b32 s59, s46
	s_wait_alu 0xfffe
	s_fmamk_f32 s9, s11, 0x4f800000, s9
	s_wait_alu 0xfffe
	s_delay_alu instid0(SALU_CYCLE_2) | instskip(NEXT) | instid1(TRANS32_DEP_1)
	v_s_rcp_f32 s9, s9
	s_mul_f32 s9, s9, 0x5f7ffffc
	s_wait_alu 0xfffe
	s_delay_alu instid0(SALU_CYCLE_2) | instskip(NEXT) | instid1(SALU_CYCLE_3)
	s_mul_f32 s11, s9, 0x2f800000
	s_trunc_f32 s11, s11
	s_delay_alu instid0(SALU_CYCLE_3) | instskip(SKIP_2) | instid1(SALU_CYCLE_1)
	s_fmamk_f32 s9, s11, 0xcf800000, s9
	s_cvt_u32_f32 s53, s11
	s_wait_alu 0xfffe
	s_cvt_u32_f32 s52, s9
	s_wait_alu 0xfffe
	s_delay_alu instid0(SALU_CYCLE_2)
	s_mul_u64 s[56:57], s[54:55], s[52:53]
	s_wait_alu 0xfffe
	s_mul_hi_u32 s61, s52, s57
	s_mul_i32 s60, s52, s57
	s_mul_hi_u32 s50, s52, s56
	s_mul_i32 s11, s53, s56
	s_add_nc_u64 s[60:61], s[50:51], s[60:61]
	s_mul_hi_u32 s9, s53, s56
	s_mul_hi_u32 s17, s53, s57
	s_add_co_u32 s11, s60, s11
	s_wait_alu 0xfffe
	s_add_co_ci_u32 s58, s61, s9
	s_mul_i32 s56, s53, s57
	s_add_co_ci_u32 s57, s17, 0
	s_wait_alu 0xfffe
	s_add_nc_u64 s[56:57], s[58:59], s[56:57]
	s_wait_alu 0xfffe
	v_add_co_u32 v1, s9, s52, s56
	s_delay_alu instid0(VALU_DEP_1) | instskip(SKIP_1) | instid1(VALU_DEP_1)
	s_cmp_lg_u32 s9, 0
	s_add_co_ci_u32 s53, s53, s57
	v_readfirstlane_b32 s52, v1
	s_mov_b32 s57, s46
	s_wait_alu 0xfffe
	s_delay_alu instid0(VALU_DEP_1)
	s_mul_u64 s[54:55], s[54:55], s[52:53]
	s_wait_alu 0xfffe
	s_mul_hi_u32 s59, s52, s55
	s_mul_i32 s58, s52, s55
	s_mul_hi_u32 s50, s52, s54
	s_mul_i32 s11, s53, s54
	s_add_nc_u64 s[58:59], s[50:51], s[58:59]
	s_mul_hi_u32 s9, s53, s54
	s_mul_hi_u32 s17, s53, s55
	s_add_co_u32 s11, s58, s11
	s_wait_alu 0xfffe
	s_add_co_ci_u32 s56, s59, s9
	s_mul_i32 s54, s53, s55
	s_add_co_ci_u32 s55, s17, 0
	s_wait_alu 0xfffe
	s_add_nc_u64 s[54:55], s[56:57], s[54:55]
	s_wait_alu 0xfffe
	v_add_co_u32 v1, s9, v1, s54
	s_delay_alu instid0(VALU_DEP_1) | instskip(SKIP_1) | instid1(VALU_DEP_1)
	s_cmp_lg_u32 s9, 0
	s_add_co_ci_u32 s9, s53, s55
	v_readfirstlane_b32 s11, v1
	s_wait_alu 0xfffe
	s_mul_hi_u32 s53, s24, s9
	s_mul_i32 s52, s24, s9
	s_mul_hi_u32 s17, s25, s9
	s_mul_i32 s54, s25, s9
	;; [unrolled: 2-line block ×3, first 2 shown]
	s_wait_alu 0xfffe
	s_add_nc_u64 s[52:53], s[50:51], s[52:53]
	s_mul_hi_u32 s11, s25, s11
	s_wait_alu 0xfffe
	s_add_co_u32 s9, s52, s9
	s_add_co_ci_u32 s56, s53, s11
	s_add_co_ci_u32 s55, s17, 0
	s_wait_alu 0xfffe
	s_add_nc_u64 s[52:53], s[56:57], s[54:55]
	s_wait_alu 0xfffe
	s_mul_u64 s[54:55], s[48:49], s[52:53]
	s_add_nc_u64 s[56:57], s[52:53], 1
	s_wait_alu 0xfffe
	v_sub_co_u32 v1, s9, s24, s54
	s_sub_co_i32 s11, s25, s55
	s_cmp_lg_u32 s9, 0
	s_add_nc_u64 s[58:59], s[52:53], 2
	s_delay_alu instid0(VALU_DEP_1) | instskip(SKIP_2) | instid1(VALU_DEP_1)
	v_sub_co_u32 v2, s17, v1, s48
	s_sub_co_ci_u32 s11, s11, s49
	s_cmp_lg_u32 s17, 0
	v_readfirstlane_b32 s17, v2
	s_sub_co_ci_u32 s11, s11, 0
	s_delay_alu instid0(SALU_CYCLE_1) | instskip(SKIP_1) | instid1(VALU_DEP_1)
	s_cmp_ge_u32 s11, s49
	s_cselect_b32 s33, -1, 0
	s_cmp_ge_u32 s17, s48
	s_cselect_b32 s17, -1, 0
	s_cmp_eq_u32 s11, s49
	s_cselect_b32 s11, s17, s33
	s_delay_alu instid0(SALU_CYCLE_1)
	s_cmp_lg_u32 s11, 0
	s_cselect_b32 s11, s58, s56
	s_cselect_b32 s17, s59, s57
	s_cmp_lg_u32 s9, 0
	v_readfirstlane_b32 s9, v1
	s_sub_co_ci_u32 s33, s25, s55
	s_delay_alu instid0(SALU_CYCLE_1) | instskip(SKIP_1) | instid1(VALU_DEP_1)
	s_cmp_ge_u32 s33, s49
	s_cselect_b32 s47, -1, 0
	s_cmp_ge_u32 s9, s48
	s_cselect_b32 s9, -1, 0
	s_cmp_eq_u32 s33, s49
	s_wait_alu 0xfffe
	s_cselect_b32 s9, s9, s47
	s_wait_alu 0xfffe
	s_cmp_lg_u32 s9, 0
	s_cselect_b32 s53, s17, s53
	s_cselect_b32 s52, s11, s52
.LBB0_6:                                ;   in Loop: Header=BB0_4 Depth=1
	s_and_not1_b32 vcc_lo, exec_lo, s51
	s_cbranch_vccnz .LBB0_8
; %bb.7:                                ;   in Loop: Header=BB0_4 Depth=1
	v_cvt_f32_u32_e32 v1, s48
	s_sub_co_i32 s11, 0, s48
	s_mov_b32 s53, s46
	s_delay_alu instid0(VALU_DEP_1) | instskip(NEXT) | instid1(TRANS32_DEP_1)
	v_rcp_iflag_f32_e32 v1, v1
	v_mul_f32_e32 v1, 0x4f7ffffe, v1
	s_delay_alu instid0(VALU_DEP_1) | instskip(NEXT) | instid1(VALU_DEP_1)
	v_cvt_u32_f32_e32 v1, v1
	v_readfirstlane_b32 s9, v1
	s_delay_alu instid0(VALU_DEP_1) | instskip(NEXT) | instid1(SALU_CYCLE_1)
	s_mul_i32 s11, s11, s9
	s_mul_hi_u32 s11, s9, s11
	s_delay_alu instid0(SALU_CYCLE_1)
	s_add_co_i32 s9, s9, s11
	s_wait_alu 0xfffe
	s_mul_hi_u32 s9, s24, s9
	s_wait_alu 0xfffe
	s_mul_i32 s11, s9, s48
	s_add_co_i32 s17, s9, 1
	s_sub_co_i32 s11, s24, s11
	s_delay_alu instid0(SALU_CYCLE_1)
	s_sub_co_i32 s33, s11, s48
	s_cmp_ge_u32 s11, s48
	s_cselect_b32 s9, s17, s9
	s_cselect_b32 s11, s33, s11
	s_wait_alu 0xfffe
	s_add_co_i32 s17, s9, 1
	s_cmp_ge_u32 s11, s48
	s_cselect_b32 s52, s17, s9
.LBB0_8:                                ;   in Loop: Header=BB0_4 Depth=1
	s_load_b64 s[50:51], s[42:43], 0x0
	s_load_b64 s[54:55], s[0:1], 0x0
	s_add_nc_u64 s[44:45], s[44:45], 1
	s_mul_u64 s[38:39], s[48:49], s[38:39]
	s_wait_alu 0xfffe
	v_cmp_ge_u64_e64 s9, s[44:45], s[14:15]
	s_mul_u64 s[48:49], s[52:53], s[48:49]
	s_add_nc_u64 s[0:1], s[0:1], 8
	s_wait_alu 0xfffe
	s_sub_nc_u64 s[24:25], s[24:25], s[48:49]
	s_add_nc_u64 s[42:43], s[42:43], 8
	s_add_nc_u64 s[20:21], s[20:21], 8
	s_and_b32 vcc_lo, exec_lo, s9
	s_wait_kmcnt 0x0
	s_wait_alu 0xfffe
	s_mul_u64 s[48:49], s[50:51], s[24:25]
	s_mul_u64 s[24:25], s[54:55], s[24:25]
	s_wait_alu 0xfffe
	s_add_nc_u64 s[36:37], s[48:49], s[36:37]
	s_add_nc_u64 s[2:3], s[24:25], s[2:3]
	s_cbranch_vccnz .LBB0_10
; %bb.9:                                ;   in Loop: Header=BB0_4 Depth=1
	s_mov_b64 s[24:25], s[52:53]
	s_branch .LBB0_4
.LBB0_10:
	v_cmp_lt_u64_e64 s0, s[34:35], s[38:39]
	s_mov_b64 s[24:25], 0
	s_delay_alu instid0(VALU_DEP_1)
	s_and_b32 vcc_lo, exec_lo, s0
	s_cbranch_vccnz .LBB0_12
; %bb.11:
	v_cvt_f32_u32_e32 v1, s38
	s_sub_co_i32 s1, 0, s38
	s_mov_b32 s25, 0
	s_delay_alu instid0(VALU_DEP_1) | instskip(NEXT) | instid1(TRANS32_DEP_1)
	v_rcp_iflag_f32_e32 v1, v1
	v_mul_f32_e32 v1, 0x4f7ffffe, v1
	s_delay_alu instid0(VALU_DEP_1) | instskip(NEXT) | instid1(VALU_DEP_1)
	v_cvt_u32_f32_e32 v1, v1
	v_readfirstlane_b32 s0, v1
	s_delay_alu instid0(VALU_DEP_1) | instskip(NEXT) | instid1(SALU_CYCLE_1)
	s_mul_i32 s1, s1, s0
	s_mul_hi_u32 s1, s0, s1
	s_delay_alu instid0(SALU_CYCLE_1) | instskip(NEXT) | instid1(SALU_CYCLE_1)
	s_add_co_i32 s0, s0, s1
	s_mul_hi_u32 s0, s34, s0
	s_delay_alu instid0(SALU_CYCLE_1) | instskip(SKIP_2) | instid1(SALU_CYCLE_1)
	s_mul_i32 s1, s0, s38
	s_add_co_i32 s3, s0, 1
	s_sub_co_i32 s1, s34, s1
	s_sub_co_i32 s9, s1, s38
	s_cmp_ge_u32 s1, s38
	s_wait_alu 0xfffe
	s_cselect_b32 s0, s3, s0
	s_cselect_b32 s1, s9, s1
	s_add_co_i32 s3, s0, 1
	s_cmp_ge_u32 s1, s38
	s_wait_alu 0xfffe
	s_cselect_b32 s24, s3, s0
.LBB0_12:
	v_mul_u32_u24_e32 v1, 0x2493, v0
	v_cmp_gt_u32_e64 s0, 0xf5, v0
	s_lshl_b64 s[14:15], s[14:15], 3
	s_add_nc_u64 s[20:21], s[40:41], 7
	v_cmp_lt_u32_e32 vcc_lo, 0xf4, v0
	v_lshrrev_b32_e32 v39, 16, v1
	v_mov_b32_e32 v3, 0
	s_delay_alu instid0(VALU_DEP_2) | instskip(NEXT) | instid1(VALU_DEP_1)
	v_mul_lo_u16 v1, v39, 7
	v_sub_nc_u16 v1, v0, v1
	s_delay_alu instid0(VALU_DEP_1) | instskip(SKIP_3) | instid1(VALU_DEP_2)
	v_and_b32_e32 v38, 0xffff, v1
	v_cndmask_b32_e64 v1, 0, 1, s0
	s_wait_alu 0xfffe
	s_add_nc_u64 s[0:1], s[22:23], s[14:15]
	v_add_co_u32 v33, s3, s40, v38
	s_wait_alu 0xf1ff
	v_add_co_ci_u32_e64 v34, null, s41, 0, s3
	v_cmp_le_u64_e64 s3, s[20:21], s[30:31]
	s_load_b64 s[20:21], s[0:1], 0x0
	v_mad_co_u64_u32 v[35:36], null, s18, v38, 0
	s_delay_alu instid0(VALU_DEP_3) | instskip(NEXT) | instid1(VALU_DEP_3)
	v_cmp_gt_u64_e64 s0, s[30:31], v[33:34]
	s_or_b32 vcc_lo, vcc_lo, s3
	s_delay_alu instid0(VALU_DEP_1) | instskip(NEXT) | instid1(VALU_DEP_1)
	v_cndmask_b32_e64 v40, 0, 1, s0
	v_cndmask_b32_e32 v2, v40, v1, vcc_lo
	s_delay_alu instid0(VALU_DEP_4) | instskip(NEXT) | instid1(VALU_DEP_1)
	v_dual_mov_b32 v4, 0 :: v_dual_mov_b32 v1, v36
	v_dual_mov_b32 v8, v4 :: v_dual_and_b32 v5, 1, v2
	v_mov_b32_e32 v7, v3
                                        ; kill: def $vgpr2 killed $sgpr0 killed $exec
	s_wait_kmcnt 0x0
	s_mul_u64 s[0:1], s[20:21], s[24:25]
	v_mad_co_u64_u32 v[1:2], null, s19, v38, v[1:2]
	v_cmp_eq_u32_e32 vcc_lo, 1, v5
	v_dual_mov_b32 v6, v4 :: v_dual_mov_b32 v5, v3
	s_wait_alu 0xfffe
	s_add_nc_u64 s[18:19], s[0:1], s[36:37]
	s_and_saveexec_b32 s1, vcc_lo
	s_cbranch_execz .LBB0_14
; %bb.13:
	v_mul_lo_u32 v1, s16, v39
	v_mov_b32_e32 v2, 0
	s_wait_alu 0xfffe
	s_delay_alu instid0(VALU_DEP_2) | instskip(NEXT) | instid1(VALU_DEP_1)
	v_add3_u32 v1, s18, v35, v1
	v_lshlrev_b64_e32 v[1:2], 4, v[1:2]
	s_delay_alu instid0(VALU_DEP_1) | instskip(SKIP_1) | instid1(VALU_DEP_2)
	v_add_co_u32 v1, s0, s4, v1
	s_wait_alu 0xf1ff
	v_add_co_ci_u32_e64 v2, s0, s5, v2, s0
	global_load_b128 v[5:8], v[1:2], off
.LBB0_14:
	s_wait_alu 0xfffe
	s_or_b32 exec_lo, exec_lo, s1
	v_dual_mov_b32 v1, v3 :: v_dual_mov_b32 v2, v4
	s_and_saveexec_b32 s1, vcc_lo
	s_cbranch_execz .LBB0_16
; %bb.15:
	v_dual_mov_b32 v2, 0 :: v_dual_add_nc_u32 v1, 35, v39
	s_delay_alu instid0(VALU_DEP_1) | instskip(NEXT) | instid1(VALU_DEP_1)
	v_mul_lo_u32 v1, s16, v1
	v_add3_u32 v1, s18, v35, v1
	s_delay_alu instid0(VALU_DEP_1) | instskip(NEXT) | instid1(VALU_DEP_1)
	v_lshlrev_b64_e32 v[1:2], 4, v[1:2]
	v_add_co_u32 v1, s0, s4, v1
	s_wait_alu 0xf1ff
	s_delay_alu instid0(VALU_DEP_2)
	v_add_co_ci_u32_e64 v2, s0, s5, v2, s0
	global_load_b128 v[1:4], v[1:2], off
.LBB0_16:
	s_wait_alu 0xfffe
	s_or_b32 exec_lo, exec_lo, s1
	v_mov_b32_e32 v11, 0
	v_mov_b32_e32 v12, 0
	s_delay_alu instid0(VALU_DEP_1)
	v_dual_mov_b32 v16, v12 :: v_dual_mov_b32 v15, v11
	v_dual_mov_b32 v14, v12 :: v_dual_mov_b32 v13, v11
	s_and_saveexec_b32 s1, vcc_lo
	s_cbranch_execz .LBB0_18
; %bb.17:
	v_dual_mov_b32 v10, 0 :: v_dual_add_nc_u32 v9, 0x46, v39
	s_delay_alu instid0(VALU_DEP_1) | instskip(NEXT) | instid1(VALU_DEP_1)
	v_mul_lo_u32 v9, s16, v9
	v_add3_u32 v9, s18, v35, v9
	s_delay_alu instid0(VALU_DEP_1) | instskip(NEXT) | instid1(VALU_DEP_1)
	v_lshlrev_b64_e32 v[9:10], 4, v[9:10]
	v_add_co_u32 v9, s0, s4, v9
	s_wait_alu 0xf1ff
	s_delay_alu instid0(VALU_DEP_2)
	v_add_co_ci_u32_e64 v10, s0, s5, v10, s0
	global_load_b128 v[13:16], v[9:10], off
.LBB0_18:
	s_wait_alu 0xfffe
	s_or_b32 exec_lo, exec_lo, s1
	v_dual_mov_b32 v9, v11 :: v_dual_mov_b32 v10, v12
	s_and_saveexec_b32 s1, vcc_lo
	s_cbranch_execz .LBB0_20
; %bb.19:
	v_dual_mov_b32 v10, 0 :: v_dual_add_nc_u32 v9, 0x69, v39
	s_delay_alu instid0(VALU_DEP_1) | instskip(NEXT) | instid1(VALU_DEP_1)
	v_mul_lo_u32 v9, s16, v9
	v_add3_u32 v9, s18, v35, v9
	s_delay_alu instid0(VALU_DEP_1) | instskip(NEXT) | instid1(VALU_DEP_1)
	v_lshlrev_b64_e32 v[9:10], 4, v[9:10]
	v_add_co_u32 v9, s0, s4, v9
	s_wait_alu 0xf1ff
	s_delay_alu instid0(VALU_DEP_2)
	v_add_co_ci_u32_e64 v10, s0, s5, v10, s0
	global_load_b128 v[9:12], v[9:10], off
.LBB0_20:
	s_wait_alu 0xfffe
	s_or_b32 exec_lo, exec_lo, s1
	v_mov_b32_e32 v19, 0
	v_mov_b32_e32 v20, 0
	s_delay_alu instid0(VALU_DEP_1)
	v_dual_mov_b32 v24, v20 :: v_dual_mov_b32 v23, v19
	v_dual_mov_b32 v22, v20 :: v_dual_mov_b32 v21, v19
	s_and_saveexec_b32 s1, vcc_lo
	s_cbranch_execz .LBB0_22
; %bb.21:
	v_dual_mov_b32 v18, 0 :: v_dual_add_nc_u32 v17, 0x8c, v39
	s_delay_alu instid0(VALU_DEP_1) | instskip(NEXT) | instid1(VALU_DEP_1)
	v_mul_lo_u32 v17, s16, v17
	v_add3_u32 v17, s18, v35, v17
	s_delay_alu instid0(VALU_DEP_1) | instskip(NEXT) | instid1(VALU_DEP_1)
	v_lshlrev_b64_e32 v[17:18], 4, v[17:18]
	v_add_co_u32 v17, s0, s4, v17
	s_wait_alu 0xf1ff
	s_delay_alu instid0(VALU_DEP_2)
	v_add_co_ci_u32_e64 v18, s0, s5, v18, s0
	global_load_b128 v[21:24], v[17:18], off
.LBB0_22:
	s_wait_alu 0xfffe
	s_or_b32 exec_lo, exec_lo, s1
	v_dual_mov_b32 v17, v19 :: v_dual_mov_b32 v18, v20
	s_and_saveexec_b32 s1, vcc_lo
	s_cbranch_execz .LBB0_24
; %bb.23:
	v_dual_mov_b32 v18, 0 :: v_dual_add_nc_u32 v17, 0xaf, v39
	s_delay_alu instid0(VALU_DEP_1) | instskip(NEXT) | instid1(VALU_DEP_1)
	v_mul_lo_u32 v17, s16, v17
	v_add3_u32 v17, s18, v35, v17
	s_delay_alu instid0(VALU_DEP_1) | instskip(NEXT) | instid1(VALU_DEP_1)
	v_lshlrev_b64_e32 v[17:18], 4, v[17:18]
	v_add_co_u32 v17, s0, s4, v17
	s_wait_alu 0xf1ff
	s_delay_alu instid0(VALU_DEP_2)
	v_add_co_ci_u32_e64 v18, s0, s5, v18, s0
	global_load_b128 v[17:20], v[17:18], off
.LBB0_24:
	s_wait_alu 0xfffe
	s_or_b32 exec_lo, exec_lo, s1
	v_mov_b32_e32 v27, 0
	v_mov_b32_e32 v28, 0
	s_delay_alu instid0(VALU_DEP_1)
	v_dual_mov_b32 v32, v28 :: v_dual_mov_b32 v31, v27
	v_dual_mov_b32 v30, v28 :: v_dual_mov_b32 v29, v27
	s_and_saveexec_b32 s1, vcc_lo
	s_cbranch_execz .LBB0_26
; %bb.25:
	v_dual_mov_b32 v26, 0 :: v_dual_add_nc_u32 v25, 0xd2, v39
	s_delay_alu instid0(VALU_DEP_1) | instskip(NEXT) | instid1(VALU_DEP_1)
	v_mul_lo_u32 v25, s16, v25
	v_add3_u32 v25, s18, v35, v25
	s_delay_alu instid0(VALU_DEP_1) | instskip(NEXT) | instid1(VALU_DEP_1)
	v_lshlrev_b64_e32 v[25:26], 4, v[25:26]
	v_add_co_u32 v25, s0, s4, v25
	s_wait_alu 0xf1ff
	s_delay_alu instid0(VALU_DEP_2)
	v_add_co_ci_u32_e64 v26, s0, s5, v26, s0
	global_load_b128 v[29:32], v[25:26], off
.LBB0_26:
	s_wait_alu 0xfffe
	s_or_b32 exec_lo, exec_lo, s1
	v_dual_mov_b32 v25, v27 :: v_dual_mov_b32 v26, v28
	s_and_saveexec_b32 s0, vcc_lo
	s_cbranch_execz .LBB0_28
; %bb.27:
	v_dual_mov_b32 v26, 0 :: v_dual_add_nc_u32 v25, 0xf5, v39
	s_delay_alu instid0(VALU_DEP_1) | instskip(NEXT) | instid1(VALU_DEP_1)
	v_mul_lo_u32 v25, s16, v25
	v_add3_u32 v25, s18, v35, v25
	s_delay_alu instid0(VALU_DEP_1) | instskip(NEXT) | instid1(VALU_DEP_1)
	v_lshlrev_b64_e32 v[25:26], 4, v[25:26]
	v_add_co_u32 v25, vcc_lo, s4, v25
	s_wait_alu 0xfffd
	s_delay_alu instid0(VALU_DEP_2)
	v_add_co_ci_u32_e32 v26, vcc_lo, s5, v26, vcc_lo
	global_load_b128 v[25:28], v[25:26], off
.LBB0_28:
	s_wait_alu 0xfffe
	s_or_b32 exec_lo, exec_lo, s0
	s_wait_loadcnt 0x0
	v_add_f64_e64 v[34:35], v[5:6], -v[21:22]
	v_add_f64_e64 v[36:37], v[7:8], -v[23:24]
	;; [unrolled: 1-line block ×8, first 2 shown]
	s_mov_b32 s4, 0x667f3bcd
	s_mov_b32 s5, 0xbfe6a09e
	;; [unrolled: 1-line block ×3, first 2 shown]
	s_wait_alu 0xfffe
	s_mov_b32 s16, s4
	s_add_nc_u64 s[0:1], s[28:29], s[14:15]
	s_mov_b32 s9, exec_lo
	v_fma_f64 v[25:26], v[5:6], 2.0, -v[34:35]
	v_fma_f64 v[29:30], v[7:8], 2.0, -v[36:37]
	v_add_f64_e64 v[19:20], v[36:37], -v[41:42]
	v_add_f64_e32 v[17:18], v[34:35], v[31:32]
	v_fma_f64 v[5:6], v[13:14], 2.0, -v[41:42]
	v_fma_f64 v[7:8], v[15:16], 2.0, -v[31:32]
	v_add_f64_e32 v[21:22], v[43:44], v[27:28]
	v_add_f64_e64 v[23:24], v[45:46], -v[47:48]
	v_fma_f64 v[15:16], v[1:2], 2.0, -v[43:44]
	v_fma_f64 v[31:32], v[3:4], 2.0, -v[45:46]
	;; [unrolled: 1-line block ×6, first 2 shown]
	v_add_f64_e64 v[9:10], v[25:26], -v[5:6]
	v_fma_f64 v[3:4], v[43:44], 2.0, -v[21:22]
	v_fma_f64 v[41:42], v[45:46], 2.0, -v[23:24]
	v_add_f64_e64 v[27:28], v[29:30], -v[7:8]
	v_add_f64_e64 v[36:37], v[31:32], -v[1:2]
	;; [unrolled: 1-line block ×3, first 2 shown]
	v_fma_f64 v[1:2], v[3:4], s[4:5], v[11:12]
	v_fma_f64 v[7:8], v[41:42], s[4:5], v[13:14]
	s_delay_alu instid0(VALU_DEP_4) | instskip(SKIP_1) | instid1(VALU_DEP_3)
	v_add_f64_e32 v[5:6], v[9:10], v[36:37]
	s_wait_alu 0xfffe
	v_fma_f64 v[1:2], v[41:42], s[16:17], v[1:2]
	s_delay_alu instid0(VALU_DEP_3)
	v_fma_f64 v[3:4], v[3:4], s[4:5], v[7:8]
	v_add_f64_e64 v[7:8], v[27:28], -v[34:35]
	v_lshlrev_b32_e32 v41, 4, v38
	v_cmpx_gt_u32_e32 0xf5, v0
	s_cbranch_execz .LBB0_30
; %bb.29:
	v_fma_f64 v[42:43], v[29:30], 2.0, -v[27:28]
	v_fma_f64 v[29:30], v[31:32], 2.0, -v[36:37]
	;; [unrolled: 1-line block ×4, first 2 shown]
	v_fma_f64 v[25:26], v[23:24], s[16:17], v[19:20]
	v_fma_f64 v[34:35], v[21:22], s[16:17], v[17:18]
	v_fma_f64 v[13:14], v[13:14], 2.0, -v[3:4]
	v_fma_f64 v[11:12], v[11:12], 2.0, -v[1:2]
	;; [unrolled: 1-line block ×3, first 2 shown]
	v_add_f64_e64 v[31:32], v[42:43], -v[29:30]
	v_add_f64_e64 v[29:30], v[46:47], -v[15:16]
	v_fma_f64 v[25:26], v[21:22], s[4:5], v[25:26]
	v_fma_f64 v[23:24], v[23:24], s[16:17], v[34:35]
	v_fma_f64 v[34:35], v[9:10], 2.0, -v[5:6]
	v_mul_u32_u24_e32 v9, 56, v39
	s_delay_alu instid0(VALU_DEP_1) | instskip(NEXT) | instid1(VALU_DEP_1)
	v_lshlrev_b32_e32 v9, 4, v9
	v_add3_u32 v9, 0, v9, v41
	v_fma_f64 v[44:45], v[42:43], 2.0, -v[31:32]
	v_fma_f64 v[42:43], v[46:47], 2.0, -v[29:30]
	;; [unrolled: 1-line block ×4, first 2 shown]
	ds_store_b128 v9, v[29:32] offset:448
	ds_store_b128 v9, v[1:4] offset:560
	ds_store_b128 v9, v[42:45]
	ds_store_b128 v9, v[11:14] offset:112
	ds_store_b128 v9, v[34:37] offset:224
	;; [unrolled: 1-line block ×5, first 2 shown]
.LBB0_30:
	s_or_b32 exec_lo, exec_lo, s9
	v_and_b32_e32 v32, 7, v39
	s_load_b64 s[4:5], s[0:1], 0x0
	global_wb scope:SCOPE_SE
	s_wait_dscnt 0x0
	s_wait_kmcnt 0x0
	s_barrier_signal -1
	s_barrier_wait -1
	v_lshlrev_b32_e32 v21, 6, v32
	global_inv scope:SCOPE_SE
	v_mul_u32_u24_e32 v25, 0x70, v39
	s_mov_b32 s0, 0x134454ff
	s_mov_b32 s1, 0xbfee6f0e
	s_clause 0x3
	global_load_b128 v[9:12], v21, s[26:27]
	global_load_b128 v[13:16], v21, s[26:27] offset:16
	global_load_b128 v[17:20], v21, s[26:27] offset:32
	;; [unrolled: 1-line block ×3, first 2 shown]
	s_mov_b32 s15, 0x3fee6f0e
	v_add3_u32 v29, 0, v25, v41
	ds_load_b128 v[25:28], v29 offset:6272
	ds_load_b128 v[34:37], v29 offset:12544
	;; [unrolled: 1-line block ×4, first 2 shown]
	s_wait_alu 0xfffe
	s_mov_b32 s14, s0
	s_wait_loadcnt_dscnt 0x303
	v_mul_f64_e32 v[30:31], v[27:28], v[11:12]
	s_wait_loadcnt_dscnt 0x202
	v_mul_f64_e32 v[50:51], v[36:37], v[15:16]
	;; [unrolled: 2-line block ×3, first 2 shown]
	v_mul_f64_e32 v[11:12], v[25:26], v[11:12]
	s_wait_loadcnt_dscnt 0x0
	v_mul_f64_e32 v[54:55], v[48:49], v[23:24]
	v_mul_f64_e32 v[15:16], v[34:35], v[15:16]
	;; [unrolled: 1-line block ×4, first 2 shown]
	v_fma_f64 v[25:26], v[25:26], v[9:10], v[30:31]
	v_fma_f64 v[30:31], v[34:35], v[13:14], v[50:51]
	;; [unrolled: 1-line block ×3, first 2 shown]
	v_fma_f64 v[27:28], v[27:28], v[9:10], -v[11:12]
	v_fma_f64 v[42:43], v[46:47], v[21:22], v[54:55]
	v_fma_f64 v[13:14], v[36:37], v[13:14], -v[15:16]
	v_fma_f64 v[15:16], v[44:45], v[17:18], -v[19:20]
	;; [unrolled: 1-line block ×3, first 2 shown]
	ds_load_b128 v[9:12], v29
	global_wb scope:SCOPE_SE
	s_wait_dscnt 0x0
	s_barrier_signal -1
	s_barrier_wait -1
	global_inv scope:SCOPE_SE
	v_add_f64_e32 v[44:45], v[9:10], v[25:26]
	v_add_f64_e32 v[19:20], v[30:31], v[34:35]
	;; [unrolled: 1-line block ×4, first 2 shown]
	v_add_f64_e64 v[52:53], v[25:26], -v[42:43]
	v_add_f64_e32 v[23:24], v[13:14], v[15:16]
	v_add_f64_e32 v[36:37], v[27:28], v[17:18]
	v_add_f64_e64 v[46:47], v[27:28], -v[17:18]
	v_add_f64_e64 v[48:49], v[13:14], -v[15:16]
	;; [unrolled: 1-line block ×8, first 2 shown]
	v_fma_f64 v[19:20], v[19:20], -0.5, v[9:10]
	v_add_f64_e32 v[13:14], v[50:51], v[13:14]
	v_fma_f64 v[9:10], v[21:22], -0.5, v[9:10]
	v_add_f64_e64 v[21:22], v[30:31], -v[34:35]
	v_fma_f64 v[23:24], v[23:24], -0.5, v[11:12]
	v_fma_f64 v[11:12], v[36:37], -0.5, v[11:12]
	v_add_f64_e64 v[36:37], v[25:26], -v[30:31]
	v_add_f64_e64 v[25:26], v[30:31], -v[25:26]
	v_add_f64_e32 v[30:31], v[44:45], v[30:31]
	v_add_f64_e32 v[27:28], v[27:28], v[62:63]
	v_fma_f64 v[44:45], v[46:47], s[0:1], v[19:20]
	s_wait_alu 0xfffe
	v_fma_f64 v[19:20], v[46:47], s[14:15], v[19:20]
	v_fma_f64 v[50:51], v[48:49], s[14:15], v[9:10]
	;; [unrolled: 1-line block ×7, first 2 shown]
	s_mov_b32 s0, 0x4755a5e
	s_mov_b32 s1, 0xbfe2cf23
	;; [unrolled: 1-line block ×3, first 2 shown]
	s_wait_alu 0xfffe
	s_mov_b32 s14, s0
	v_add_f64_e32 v[36:37], v[36:37], v[54:55]
	v_add_f64_e32 v[54:55], v[25:26], v[56:57]
	;; [unrolled: 1-line block ×5, first 2 shown]
	v_fma_f64 v[15:16], v[48:49], s[0:1], v[44:45]
	s_wait_alu 0xfffe
	v_fma_f64 v[19:20], v[48:49], s[14:15], v[19:20]
	v_fma_f64 v[30:31], v[46:47], s[0:1], v[50:51]
	;; [unrolled: 1-line block ×7, first 2 shown]
	s_mov_b32 s0, 0x372fe950
	s_mov_b32 s1, 0x3fd3c6ef
	v_add_f64_e32 v[9:10], v[25:26], v[42:43]
	v_add_f64_e32 v[11:12], v[13:14], v[17:18]
	s_wait_alu 0xfffe
	v_fma_f64 v[13:14], v[36:37], s[0:1], v[15:16]
	v_fma_f64 v[25:26], v[36:37], s[0:1], v[19:20]
	;; [unrolled: 1-line block ×8, first 2 shown]
	v_lshrrev_b32_e32 v30, 3, v39
	s_mov_b32 s0, exec_lo
	s_delay_alu instid0(VALU_DEP_1) | instskip(NEXT) | instid1(VALU_DEP_1)
	v_mul_u32_u24_e32 v30, 40, v30
	v_or_b32_e32 v30, v30, v32
	s_delay_alu instid0(VALU_DEP_1) | instskip(NEXT) | instid1(VALU_DEP_1)
	v_mul_u32_u24_e32 v30, 0x70, v30
	v_add3_u32 v30, 0, v30, v41
	ds_store_b128 v30, v[9:12]
	ds_store_b128 v30, v[13:16] offset:896
	ds_store_b128 v30, v[17:20] offset:1792
	;; [unrolled: 1-line block ×4, first 2 shown]
	global_wb scope:SCOPE_SE
	s_wait_dscnt 0x0
	s_barrier_signal -1
	s_barrier_wait -1
	global_inv scope:SCOPE_SE
	v_cmpx_gt_u32_e32 0x118, v0
	s_cbranch_execz .LBB0_32
; %bb.31:
	ds_load_b128 v[9:12], v29
	ds_load_b128 v[13:16], v29 offset:4480
	ds_load_b128 v[17:20], v29 offset:8960
	ds_load_b128 v[21:24], v29 offset:13440
	ds_load_b128 v[25:28], v29 offset:17920
	ds_load_b128 v[1:4], v29 offset:22400
	ds_load_b128 v[5:8], v29 offset:26880
.LBB0_32:
	s_wait_alu 0xfffe
	s_or_b32 exec_lo, exec_lo, s0
	v_cmp_gt_u32_e64 s0, 0x118, v0
	v_cmp_lt_u32_e32 vcc_lo, 0x117, v0
	s_wait_alu 0xf1ff
	s_delay_alu instid0(VALU_DEP_2) | instskip(SKIP_3) | instid1(VALU_DEP_1)
	v_cndmask_b32_e64 v29, 0, 1, s0
	s_or_b32 vcc_lo, vcc_lo, s3
	s_mov_b32 s0, exec_lo
	s_wait_alu 0xfffe
	v_cndmask_b32_e32 v29, v40, v29, vcc_lo
	s_delay_alu instid0(VALU_DEP_1) | instskip(NEXT) | instid1(VALU_DEP_1)
	v_and_b32_e32 v29, 1, v29
	v_cmpx_eq_u32_e32 1, v29
	s_cbranch_execz .LBB0_34
; %bb.33:
	v_mul_lo_u16 v29, 0x67, v39
	s_mov_b32 s14, 0xe976ee23
	s_mov_b32 s15, 0x3fe11646
	;; [unrolled: 1-line block ×4, first 2 shown]
	v_lshrrev_b16 v29, 12, v29
	s_mov_b32 s20, 0x429ad128
	s_mov_b32 s1, 0xbfd5d0dc
	;; [unrolled: 1-line block ×4, first 2 shown]
	v_mul_lo_u16 v29, v29, 40
	s_mov_b32 s16, 0x36b3c0b5
	s_mov_b32 s17, 0x3fac98ee
	;; [unrolled: 1-line block ×4, first 2 shown]
	v_sub_nc_u16 v29, v39, v29
	s_delay_alu instid0(VALU_DEP_1) | instskip(NEXT) | instid1(VALU_DEP_1)
	v_and_b32_e32 v29, 0xff, v29
	v_mul_u32_u24_e32 v30, 6, v29
	v_add_nc_u32_e32 v32, 0xa0, v29
	s_delay_alu instid0(VALU_DEP_2) | instskip(NEXT) | instid1(VALU_DEP_2)
	v_lshlrev_b32_e32 v30, 4, v30
	v_mul_lo_u32 v32, v33, v32
	s_clause 0x5
	global_load_b128 v[34:37], v30, s[26:27] offset:560
	global_load_b128 v[39:42], v30, s[26:27] offset:544
	;; [unrolled: 1-line block ×6, first 2 shown]
	v_mul_lo_u32 v30, v33, v29
	v_and_b32_e32 v95, 0xff, v32
	v_lshrrev_b32_e32 v96, 4, v32
	s_delay_alu instid0(VALU_DEP_3) | instskip(SKIP_1) | instid1(VALU_DEP_2)
	v_and_b32_e32 v31, 0xff, v30
	v_lshrrev_b32_e32 v30, 4, v30
	v_lshlrev_b32_e32 v31, 4, v31
	s_delay_alu instid0(VALU_DEP_2)
	v_and_b32_e32 v30, 0xff0, v30
	s_clause 0x1
	global_load_b128 v[59:62], v31, s[12:13]
	global_load_b128 v[63:66], v30, s[12:13] offset:4096
	s_wait_loadcnt_dscnt 0x702
	v_mul_f64_e32 v[30:31], v[27:28], v[36:37]
	s_wait_loadcnt 0x6
	v_mul_f64_e32 v[67:68], v[23:24], v[41:42]
	s_wait_loadcnt 0x5
	v_mul_f64_e32 v[69:70], v[19:20], v[45:46]
	s_wait_loadcnt_dscnt 0x401
	v_mul_f64_e32 v[71:72], v[3:4], v[49:50]
	s_wait_loadcnt 0x3
	v_mul_f64_e32 v[73:74], v[15:16], v[53:54]
	v_mul_f64_e32 v[45:46], v[17:18], v[45:46]
	;; [unrolled: 1-line block ×4, first 2 shown]
	s_wait_loadcnt_dscnt 0x200
	v_mul_f64_e32 v[75:76], v[5:6], v[57:58]
	v_mul_f64_e32 v[57:58], v[7:8], v[57:58]
	;; [unrolled: 1-line block ×4, first 2 shown]
	v_fma_f64 v[25:26], v[25:26], v[34:35], v[30:31]
	v_fma_f64 v[21:22], v[21:22], v[39:40], v[67:68]
	;; [unrolled: 1-line block ×5, first 2 shown]
	v_fma_f64 v[19:20], v[19:20], v[43:44], -v[45:46]
	v_fma_f64 v[3:4], v[3:4], v[47:48], -v[49:50]
	;; [unrolled: 1-line block ×4, first 2 shown]
	v_fma_f64 v[5:6], v[5:6], v[55:56], v[57:58]
	v_fma_f64 v[23:24], v[23:24], v[39:40], -v[41:42]
	v_fma_f64 v[27:28], v[27:28], v[34:35], -v[36:37]
	v_add_nc_u32_e32 v56, 0x50, v29
	v_add_nc_u32_e32 v55, 0x78, v29
	;; [unrolled: 1-line block ×3, first 2 shown]
	s_delay_alu instid0(VALU_DEP_3) | instskip(NEXT) | instid1(VALU_DEP_3)
	v_mul_lo_u32 v77, v33, v56
	v_mul_lo_u32 v55, v33, v55
	s_delay_alu instid0(VALU_DEP_3) | instskip(NEXT) | instid1(VALU_DEP_3)
	v_mul_lo_u32 v87, v33, v57
	v_and_b32_e32 v99, 0xff, v77
	s_delay_alu instid0(VALU_DEP_3)
	v_and_b32_e32 v97, 0xff, v55
	v_lshrrev_b32_e32 v98, 4, v55
	v_add_f64_e64 v[30:31], v[25:26], -v[21:22]
	v_add_f64_e64 v[34:35], v[17:18], -v[1:2]
	v_add_f64_e32 v[17:18], v[17:18], v[1:2]
	v_add_f64_e32 v[36:37], v[19:20], v[3:4]
	v_add_f64_e64 v[3:4], v[19:20], -v[3:4]
	v_add_f64_e32 v[39:40], v[15:16], v[7:8]
	v_add_f64_e32 v[41:42], v[13:14], v[5:6]
	v_add_f64_e64 v[43:44], v[13:14], -v[5:6]
	v_add_f64_e64 v[1:2], v[27:28], -v[23:24]
	v_add_f64_e32 v[5:6], v[23:24], v[27:28]
	v_add_f64_e32 v[13:14], v[21:22], v[25:26]
	v_add_f64_e64 v[45:46], v[15:16], -v[7:8]
	v_add_nc_u32_e32 v27, 0xf0, v29
	v_add_nc_u32_e32 v28, 0xc8, v29
	s_delay_alu instid0(VALU_DEP_2) | instskip(NEXT) | instid1(VALU_DEP_2)
	v_mul_lo_u32 v27, v33, v27
	v_mul_lo_u32 v28, v33, v28
	s_wait_loadcnt 0x0
	v_mul_f64_e32 v[32:33], v[59:60], v[65:66]
	s_delay_alu instid0(VALU_DEP_3) | instskip(SKIP_1) | instid1(VALU_DEP_4)
	v_and_b32_e32 v56, 0xff, v27
	v_lshrrev_b32_e32 v78, 4, v27
	v_and_b32_e32 v93, 0xff, v28
	v_lshrrev_b32_e32 v94, 4, v28
	v_mul_f64_e32 v[27:28], v[61:62], v[65:66]
	v_lshlrev_b32_e32 v79, 4, v56
	v_add_f64_e64 v[7:8], v[30:31], -v[34:35]
	v_add_f64_e32 v[55:56], v[30:31], v[34:35]
	v_add_f64_e32 v[15:16], v[36:37], v[39:40]
	;; [unrolled: 1-line block ×3, first 2 shown]
	v_add_f64_e64 v[47:48], v[34:35], -v[43:44]
	v_add_f64_e64 v[21:22], v[1:2], -v[3:4]
	;; [unrolled: 1-line block ×7, first 2 shown]
	v_add_f64_e32 v[65:66], v[1:2], v[3:4]
	v_add_f64_e64 v[67:68], v[45:46], -v[1:2]
	v_add_f64_e64 v[53:54], v[13:14], -v[17:18]
	;; [unrolled: 1-line block ×4, first 2 shown]
	v_and_b32_e32 v17, 0xff0, v94
	v_lshlrev_b32_e32 v39, 4, v99
	v_lshlrev_b32_e32 v30, 4, v97
	v_and_b32_e32 v34, 0xff0, v98
	v_fma_f64 v[61:62], v[63:64], v[61:62], v[32:33]
	v_fma_f64 v[59:60], v[59:60], v[63:64], -v[27:28]
	s_wait_alu 0xfffe
	v_mul_f64_e32 v[69:70], s[14:15], v[7:8]
	v_add_f64_e32 v[55:56], v[55:56], v[43:44]
	v_add_f64_e32 v[71:72], v[5:6], v[15:16]
	v_and_b32_e32 v5, 0xff0, v78
	v_add_f64_e32 v[73:74], v[13:14], v[19:20]
	v_mul_f64_e32 v[75:76], s[14:15], v[21:22]
	s_clause 0x1
	global_load_b128 v[1:4], v79, s[12:13]
	global_load_b128 v[5:8], v5, s[12:13] offset:4096
	v_and_b32_e32 v14, 0xff, v87
	v_lshrrev_b32_e32 v13, 4, v77
	v_lshrrev_b32_e32 v15, 4, v87
	v_lshlrev_b32_e32 v16, 4, v93
	v_lshlrev_b32_e32 v21, 4, v95
	;; [unrolled: 1-line block ×3, first 2 shown]
	v_mul_f64_e32 v[81:82], s[18:19], v[25:26]
	v_and_b32_e32 v25, 0xff0, v96
	v_and_b32_e32 v40, 0xff0, v13
	;; [unrolled: 1-line block ×3, first 2 shown]
	s_clause 0x1
	global_load_b128 v[13:16], v16, s[12:13]
	global_load_b128 v[17:20], v17, s[12:13] offset:4096
	v_mul_f64_e32 v[77:78], s[20:21], v[47:48]
	v_mul_f64_e32 v[79:80], s[18:19], v[23:24]
	;; [unrolled: 1-line block ×3, first 2 shown]
	s_clause 0x3
	global_load_b128 v[21:24], v21, s[12:13]
	global_load_b128 v[25:28], v25, s[12:13] offset:4096
	global_load_b128 v[30:33], v30, s[12:13]
	global_load_b128 v[34:37], v34, s[12:13] offset:4096
	v_add_f64_e32 v[63:64], v[65:66], v[45:46]
	v_mul_f64_e32 v[89:90], s[16:17], v[51:52]
	v_mul_f64_e32 v[91:92], s[16:17], v[53:54]
	v_fma_f64 v[65:66], v[57:58], s[0:1], v[69:70]
	v_fma_f64 v[69:70], v[47:48], s[20:21], -v[69:70]
	v_add_f64_e32 v[93:94], v[11:12], v[71:72]
	v_add_f64_e32 v[95:96], v[9:10], v[73:74]
	v_fma_f64 v[97:98], v[67:68], s[0:1], v[75:76]
	v_fma_f64 v[75:76], v[49:50], s[20:21], -v[75:76]
	s_clause 0x3
	global_load_b128 v[9:12], v39, s[12:13]
	global_load_b128 v[39:42], v40, s[12:13] offset:4096
	global_load_b128 v[43:46], v99, s[12:13]
	global_load_b128 v[47:50], v100, s[12:13] offset:4096
	s_mov_b32 s1, 0x3fd5d0dc
	v_fma_f64 v[53:54], v[53:54], s[16:17], v[81:82]
	s_wait_alu 0xfffe
	v_fma_f64 v[57:58], v[57:58], s[0:1], -v[77:78]
	v_fma_f64 v[51:52], v[51:52], s[16:17], v[79:80]
	v_fma_f64 v[67:68], v[67:68], s[0:1], -v[87:88]
	s_mov_b32 s0, 0xaaaaaaaa
	s_mov_b32 s1, 0xbff2aaaa
	v_fma_f64 v[77:78], v[83:84], s[22:23], -v[79:80]
	v_fma_f64 v[79:80], v[85:86], s[22:23], -v[81:82]
	s_mov_b32 s23, 0x3fe77f67
	s_wait_alu 0xfffe
	v_fma_f64 v[81:82], v[83:84], s[22:23], -v[89:90]
	v_fma_f64 v[83:84], v[85:86], s[22:23], -v[91:92]
	v_mul_lo_u32 v89, s10, v38
	v_fma_f64 v[71:72], v[71:72], s[0:1], v[93:94]
	v_fma_f64 v[73:74], v[73:74], s[0:1], v[95:96]
	s_mov_b32 s0, 0x37c3f68c
	s_mov_b32 s1, 0xbfdc38aa
	s_wait_alu 0xfffe
	v_fma_f64 v[65:66], v[55:56], s[0:1], v[65:66]
	v_fma_f64 v[69:70], v[55:56], s[0:1], v[69:70]
	;; [unrolled: 1-line block ×6, first 2 shown]
	s_mul_i32 s0, s4, s24
	s_wait_alu 0xfffe
	s_add_co_i32 s0, s0, s2
	v_add_f64_e32 v[67:68], v[77:78], v[71:72]
	v_add_f64_e32 v[51:52], v[51:52], v[71:72]
	;; [unrolled: 1-line block ×6, first 2 shown]
	v_and_b32_e32 v83, 0xffff, v0
	s_delay_alu instid0(VALU_DEP_1) | instskip(NEXT) | instid1(VALU_DEP_1)
	v_mul_u32_u24_e32 v83, 0x1d5, v83
	v_lshrrev_b32_e32 v83, 17, v83
	s_wait_loadcnt 0xa
	v_mul_f64_e32 v[57:58], v[3:4], v[7:8]
	v_mul_f64_e32 v[7:8], v[1:2], v[7:8]
	s_wait_loadcnt 0x8
	v_mul_f64_e32 v[77:78], v[15:16], v[19:20]
	v_mul_f64_e32 v[19:20], v[13:14], v[19:20]
	s_delay_alu instid0(VALU_DEP_4) | instskip(NEXT) | instid1(VALU_DEP_4)
	v_fma_f64 v[57:58], v[1:2], v[5:6], -v[57:58]
	v_fma_f64 v[1:2], v[3:4], v[5:6], v[7:8]
	s_wait_loadcnt 0x6
	v_mul_f64_e32 v[3:4], v[21:22], v[27:28]
	s_wait_loadcnt 0x2
	v_mul_f64_e32 v[7:8], v[9:10], v[41:42]
	;; [unrolled: 2-line block ×3, first 2 shown]
	v_mul_f64_e32 v[5:6], v[30:31], v[36:37]
	v_mul_f64_e32 v[49:50], v[45:46], v[49:50]
	v_fma_f64 v[77:78], v[13:14], v[17:18], -v[77:78]
	v_fma_f64 v[13:14], v[15:16], v[17:18], v[19:20]
	v_mul_f64_e32 v[15:16], v[23:24], v[27:28]
	v_mul_f64_e32 v[17:18], v[32:33], v[36:37]
	;; [unrolled: 1-line block ×3, first 2 shown]
	v_add_f64_e64 v[27:28], v[71:72], -v[69:70]
	v_add_f64_e32 v[36:37], v[69:70], v[71:72]
	v_add_f64_e32 v[41:42], v[75:76], v[73:74]
	v_add_f64_e64 v[69:70], v[73:74], -v[75:76]
	v_add_f64_e32 v[73:74], v[65:66], v[51:52]
	v_add_f64_e64 v[51:52], v[51:52], -v[65:66]
	v_add_f64_e64 v[65:66], v[53:54], -v[85:86]
	v_add_f64_e32 v[53:54], v[85:86], v[53:54]
	v_add_f64_e32 v[71:72], v[55:56], v[67:68]
	v_add_f64_e64 v[55:56], v[67:68], -v[55:56]
	v_add_f64_e64 v[67:68], v[79:80], -v[63:64]
	v_add_f64_e32 v[63:64], v[63:64], v[79:80]
	v_mul_lo_u16 v75, 0x118, v83
	v_fma_f64 v[3:4], v[23:24], v[25:26], v[3:4]
	v_fma_f64 v[7:8], v[11:12], v[39:40], v[7:8]
	;; [unrolled: 1-line block ×3, first 2 shown]
	v_mov_b32_e32 v82, 0
	v_fma_f64 v[5:6], v[32:33], v[34:35], v[5:6]
	v_sub_nc_u16 v23, v0, v75
	s_delay_alu instid0(VALU_DEP_1)
	v_and_b32_e32 v23, 0xffff, v23
	v_fma_f64 v[32:33], v[21:22], v[25:26], -v[15:16]
	v_fma_f64 v[16:17], v[30:31], v[34:35], -v[17:18]
	;; [unrolled: 1-line block ×3, first 2 shown]
	v_mul_f64_e32 v[9:10], v[95:96], v[61:62]
	v_sub_nc_u32_e32 v0, v0, v23
	v_mul_f64_e32 v[18:19], v[93:94], v[61:62]
	v_fma_f64 v[24:25], v[43:44], v[47:48], -v[49:50]
	v_mul_f64_e32 v[79:80], v[73:74], v[1:2]
	v_mul_f64_e32 v[22:23], v[65:66], v[1:2]
	v_add_nc_u32_e32 v0, v0, v29
	v_mul_f64_e32 v[75:76], v[71:72], v[13:14]
	v_mul_f64_e32 v[29:30], v[67:68], v[13:14]
	s_delay_alu instid0(VALU_DEP_3) | instskip(SKIP_2) | instid1(VALU_DEP_2)
	v_mul_lo_u32 v81, s8, v0
	v_add_nc_u32_e32 v83, 40, v0
	v_add_nc_u32_e32 v1, 0x50, v0
	v_mul_lo_u32 v2, s8, v83
	s_wait_alu 0xfffe
	s_delay_alu instid0(VALU_DEP_4)
	v_add3_u32 v81, v89, v81, s0
	v_mul_f64_e32 v[34:35], v[41:42], v[3:4]
	v_mul_f64_e32 v[43:44], v[63:64], v[7:8]
	;; [unrolled: 1-line block ×8, first 2 shown]
	v_add_nc_u32_e32 v3, 0x78, v0
	v_mul_lo_u32 v11, s8, v1
	v_add_nc_u32_e32 v6, 0xa0, v0
	v_add_nc_u32_e32 v7, 0xc8, v0
	;; [unrolled: 1-line block ×3, first 2 shown]
	v_lshlrev_b64_e32 v[0:1], 4, v[81:82]
	v_add3_u32 v81, v89, v2, s0
	v_mul_lo_u32 v2, s8, v3
	v_mul_lo_u32 v40, s8, v6
	;; [unrolled: 1-line block ×4, first 2 shown]
	v_lshlrev_b64_e32 v[83:84], 4, v[81:82]
	v_add3_u32 v81, v89, v11, s0
	v_add_co_u32 v85, vcc_lo, s6, v0
	s_wait_alu 0xfffd
	v_add_co_ci_u32_e32 v86, vcc_lo, s7, v1, vcc_lo
	s_delay_alu instid0(VALU_DEP_3)
	v_lshlrev_b64_e32 v[87:88], 4, v[81:82]
	v_add3_u32 v81, v89, v2, s0
	v_fma_f64 v[2:3], v[93:94], v[59:60], -v[9:10]
	v_fma_f64 v[0:1], v[95:96], v[59:60], v[18:19]
	v_fma_f64 v[6:7], v[73:74], v[57:58], -v[22:23]
	v_fma_f64 v[10:11], v[71:72], v[77:78], -v[29:30]
	v_fma_f64 v[8:9], v[67:68], v[77:78], v[75:76]
	v_lshlrev_b64_e32 v[30:31], 4, v[81:82]
	v_add3_u32 v81, v89, v40, s0
	v_fma_f64 v[14:15], v[27:28], v[32:33], -v[34:35]
	v_fma_f64 v[22:23], v[55:56], v[20:21], -v[43:44]
	;; [unrolled: 1-line block ×3, first 2 shown]
	v_fma_f64 v[24:25], v[24:25], v[53:54], v[47:48]
	v_fma_f64 v[20:21], v[63:64], v[20:21], v[49:50]
	v_fma_f64 v[18:19], v[36:37], v[16:17], -v[38:39]
	v_fma_f64 v[16:17], v[69:70], v[16:17], v[61:62]
	v_fma_f64 v[12:13], v[41:42], v[32:33], v[4:5]
	;; [unrolled: 1-line block ×3, first 2 shown]
	v_lshlrev_b64_e32 v[34:35], 4, v[81:82]
	v_add3_u32 v81, v89, v90, s0
	v_add_co_u32 v28, vcc_lo, s6, v83
	s_wait_alu 0xfffd
	v_add_co_ci_u32_e32 v29, vcc_lo, s7, v84, vcc_lo
	v_add_co_u32 v32, vcc_lo, s6, v87
	v_lshlrev_b64_e32 v[36:37], 4, v[81:82]
	v_add3_u32 v81, v89, v91, s0
	s_wait_alu 0xfffd
	v_add_co_ci_u32_e32 v33, vcc_lo, s7, v88, vcc_lo
	v_add_co_u32 v30, vcc_lo, s6, v30
	s_wait_alu 0xfffd
	v_add_co_ci_u32_e32 v31, vcc_lo, s7, v31, vcc_lo
	v_add_co_u32 v34, vcc_lo, s6, v34
	v_lshlrev_b64_e32 v[38:39], 4, v[81:82]
	s_wait_alu 0xfffd
	v_add_co_ci_u32_e32 v35, vcc_lo, s7, v35, vcc_lo
	v_add_co_u32 v36, vcc_lo, s6, v36
	s_wait_alu 0xfffd
	v_add_co_ci_u32_e32 v37, vcc_lo, s7, v37, vcc_lo
	v_add_co_u32 v38, vcc_lo, s6, v38
	s_wait_alu 0xfffd
	v_add_co_ci_u32_e32 v39, vcc_lo, s7, v39, vcc_lo
	s_clause 0x6
	global_store_b128 v[85:86], v[0:3], off
	global_store_b128 v[28:29], v[24:27], off
	global_store_b128 v[32:33], v[20:23], off
	global_store_b128 v[30:31], v[16:19], off
	global_store_b128 v[34:35], v[12:15], off
	global_store_b128 v[36:37], v[8:11], off
	global_store_b128 v[38:39], v[4:7], off
.LBB0_34:
	s_nop 0
	s_sendmsg sendmsg(MSG_DEALLOC_VGPRS)
	s_endpgm
	.section	.rodata,"a",@progbits
	.p2align	6, 0x0
	.amdhsa_kernel fft_rtc_back_len280_factors_8_5_7_wgs_392_tpt_56_dp_op_CI_CI_sbcc_twdbase8_2step_dirReg_intrinsicReadWrite
		.amdhsa_group_segment_fixed_size 0
		.amdhsa_private_segment_fixed_size 0
		.amdhsa_kernarg_size 112
		.amdhsa_user_sgpr_count 2
		.amdhsa_user_sgpr_dispatch_ptr 0
		.amdhsa_user_sgpr_queue_ptr 0
		.amdhsa_user_sgpr_kernarg_segment_ptr 1
		.amdhsa_user_sgpr_dispatch_id 0
		.amdhsa_user_sgpr_private_segment_size 0
		.amdhsa_wavefront_size32 1
		.amdhsa_uses_dynamic_stack 0
		.amdhsa_enable_private_segment 0
		.amdhsa_system_sgpr_workgroup_id_x 1
		.amdhsa_system_sgpr_workgroup_id_y 0
		.amdhsa_system_sgpr_workgroup_id_z 0
		.amdhsa_system_sgpr_workgroup_info 0
		.amdhsa_system_vgpr_workitem_id 0
		.amdhsa_next_free_vgpr 101
		.amdhsa_next_free_sgpr 62
		.amdhsa_reserve_vcc 1
		.amdhsa_float_round_mode_32 0
		.amdhsa_float_round_mode_16_64 0
		.amdhsa_float_denorm_mode_32 3
		.amdhsa_float_denorm_mode_16_64 3
		.amdhsa_fp16_overflow 0
		.amdhsa_workgroup_processor_mode 1
		.amdhsa_memory_ordered 1
		.amdhsa_forward_progress 0
		.amdhsa_round_robin_scheduling 0
		.amdhsa_exception_fp_ieee_invalid_op 0
		.amdhsa_exception_fp_denorm_src 0
		.amdhsa_exception_fp_ieee_div_zero 0
		.amdhsa_exception_fp_ieee_overflow 0
		.amdhsa_exception_fp_ieee_underflow 0
		.amdhsa_exception_fp_ieee_inexact 0
		.amdhsa_exception_int_div_zero 0
	.end_amdhsa_kernel
	.text
.Lfunc_end0:
	.size	fft_rtc_back_len280_factors_8_5_7_wgs_392_tpt_56_dp_op_CI_CI_sbcc_twdbase8_2step_dirReg_intrinsicReadWrite, .Lfunc_end0-fft_rtc_back_len280_factors_8_5_7_wgs_392_tpt_56_dp_op_CI_CI_sbcc_twdbase8_2step_dirReg_intrinsicReadWrite
                                        ; -- End function
	.section	.AMDGPU.csdata,"",@progbits
; Kernel info:
; codeLenInByte = 6580
; NumSgprs: 64
; NumVgprs: 101
; ScratchSize: 0
; MemoryBound: 0
; FloatMode: 240
; IeeeMode: 1
; LDSByteSize: 0 bytes/workgroup (compile time only)
; SGPRBlocks: 7
; VGPRBlocks: 12
; NumSGPRsForWavesPerEU: 64
; NumVGPRsForWavesPerEU: 101
; Occupancy: 12
; WaveLimiterHint : 1
; COMPUTE_PGM_RSRC2:SCRATCH_EN: 0
; COMPUTE_PGM_RSRC2:USER_SGPR: 2
; COMPUTE_PGM_RSRC2:TRAP_HANDLER: 0
; COMPUTE_PGM_RSRC2:TGID_X_EN: 1
; COMPUTE_PGM_RSRC2:TGID_Y_EN: 0
; COMPUTE_PGM_RSRC2:TGID_Z_EN: 0
; COMPUTE_PGM_RSRC2:TIDIG_COMP_CNT: 0
	.text
	.p2alignl 7, 3214868480
	.fill 96, 4, 3214868480
	.type	__hip_cuid_cd5c63a778d98b0e,@object ; @__hip_cuid_cd5c63a778d98b0e
	.section	.bss,"aw",@nobits
	.globl	__hip_cuid_cd5c63a778d98b0e
__hip_cuid_cd5c63a778d98b0e:
	.byte	0                               ; 0x0
	.size	__hip_cuid_cd5c63a778d98b0e, 1

	.ident	"AMD clang version 19.0.0git (https://github.com/RadeonOpenCompute/llvm-project roc-6.4.0 25133 c7fe45cf4b819c5991fe208aaa96edf142730f1d)"
	.section	".note.GNU-stack","",@progbits
	.addrsig
	.addrsig_sym __hip_cuid_cd5c63a778d98b0e
	.amdgpu_metadata
---
amdhsa.kernels:
  - .args:
      - .actual_access:  read_only
        .address_space:  global
        .offset:         0
        .size:           8
        .value_kind:     global_buffer
      - .address_space:  global
        .offset:         8
        .size:           8
        .value_kind:     global_buffer
      - .offset:         16
        .size:           8
        .value_kind:     by_value
      - .actual_access:  read_only
        .address_space:  global
        .offset:         24
        .size:           8
        .value_kind:     global_buffer
      - .actual_access:  read_only
        .address_space:  global
        .offset:         32
        .size:           8
        .value_kind:     global_buffer
      - .actual_access:  read_only
        .address_space:  global
        .offset:         40
        .size:           8
        .value_kind:     global_buffer
      - .offset:         48
        .size:           8
        .value_kind:     by_value
      - .actual_access:  read_only
        .address_space:  global
        .offset:         56
        .size:           8
        .value_kind:     global_buffer
      - .actual_access:  read_only
        .address_space:  global
        .offset:         64
        .size:           8
        .value_kind:     global_buffer
      - .offset:         72
        .size:           4
        .value_kind:     by_value
      - .actual_access:  read_only
        .address_space:  global
        .offset:         80
        .size:           8
        .value_kind:     global_buffer
      - .actual_access:  read_only
        .address_space:  global
        .offset:         88
        .size:           8
        .value_kind:     global_buffer
      - .actual_access:  read_only
        .address_space:  global
        .offset:         96
        .size:           8
        .value_kind:     global_buffer
      - .actual_access:  write_only
        .address_space:  global
        .offset:         104
        .size:           8
        .value_kind:     global_buffer
    .group_segment_fixed_size: 0
    .kernarg_segment_align: 8
    .kernarg_segment_size: 112
    .language:       OpenCL C
    .language_version:
      - 2
      - 0
    .max_flat_workgroup_size: 392
    .name:           fft_rtc_back_len280_factors_8_5_7_wgs_392_tpt_56_dp_op_CI_CI_sbcc_twdbase8_2step_dirReg_intrinsicReadWrite
    .private_segment_fixed_size: 0
    .sgpr_count:     64
    .sgpr_spill_count: 0
    .symbol:         fft_rtc_back_len280_factors_8_5_7_wgs_392_tpt_56_dp_op_CI_CI_sbcc_twdbase8_2step_dirReg_intrinsicReadWrite.kd
    .uniform_work_group_size: 1
    .uses_dynamic_stack: false
    .vgpr_count:     101
    .vgpr_spill_count: 0
    .wavefront_size: 32
    .workgroup_processor_mode: 1
amdhsa.target:   amdgcn-amd-amdhsa--gfx1201
amdhsa.version:
  - 1
  - 2
...

	.end_amdgpu_metadata
